;; amdgpu-corpus repo=ROCm/rocFFT kind=compiled arch=gfx1201 opt=O3
	.text
	.amdgcn_target "amdgcn-amd-amdhsa--gfx1201"
	.amdhsa_code_object_version 6
	.protected	fft_rtc_back_len192_factors_6_4_4_2_wgs_128_tpt_16_halfLds_half_ip_CI_unitstride_sbrr_R2C_dirReg ; -- Begin function fft_rtc_back_len192_factors_6_4_4_2_wgs_128_tpt_16_halfLds_half_ip_CI_unitstride_sbrr_R2C_dirReg
	.globl	fft_rtc_back_len192_factors_6_4_4_2_wgs_128_tpt_16_halfLds_half_ip_CI_unitstride_sbrr_R2C_dirReg
	.p2align	8
	.type	fft_rtc_back_len192_factors_6_4_4_2_wgs_128_tpt_16_halfLds_half_ip_CI_unitstride_sbrr_R2C_dirReg,@function
fft_rtc_back_len192_factors_6_4_4_2_wgs_128_tpt_16_halfLds_half_ip_CI_unitstride_sbrr_R2C_dirReg: ; @fft_rtc_back_len192_factors_6_4_4_2_wgs_128_tpt_16_halfLds_half_ip_CI_unitstride_sbrr_R2C_dirReg
; %bb.0:
	s_clause 0x2
	s_load_b128 s[4:7], s[0:1], 0x0
	s_load_b64 s[8:9], s[0:1], 0x50
	s_load_b64 s[10:11], s[0:1], 0x18
	v_lshrrev_b32_e32 v14, 4, v0
	v_mov_b32_e32 v3, 0
	v_mov_b32_e32 v1, 0
	;; [unrolled: 1-line block ×3, first 2 shown]
	s_delay_alu instid0(VALU_DEP_4) | instskip(NEXT) | instid1(VALU_DEP_4)
	v_lshl_or_b32 v5, ttmp9, 3, v14
	v_mov_b32_e32 v6, v3
	s_wait_kmcnt 0x0
	v_cmp_lt_u64_e64 s2, s[6:7], 2
	s_delay_alu instid0(VALU_DEP_1)
	s_and_b32 vcc_lo, exec_lo, s2
	s_cbranch_vccnz .LBB0_8
; %bb.1:
	s_load_b64 s[2:3], s[0:1], 0x10
	v_mov_b32_e32 v1, 0
	v_mov_b32_e32 v2, 0
	s_add_nc_u64 s[12:13], s[10:11], 8
	s_mov_b64 s[14:15], 1
	s_wait_kmcnt 0x0
	s_add_nc_u64 s[16:17], s[2:3], 8
	s_mov_b32 s3, 0
.LBB0_2:                                ; =>This Inner Loop Header: Depth=1
	s_load_b64 s[18:19], s[16:17], 0x0
                                        ; implicit-def: $vgpr7_vgpr8
	s_mov_b32 s2, exec_lo
	s_wait_kmcnt 0x0
	v_or_b32_e32 v4, s19, v6
	s_delay_alu instid0(VALU_DEP_1)
	v_cmpx_ne_u64_e32 0, v[3:4]
	s_wait_alu 0xfffe
	s_xor_b32 s20, exec_lo, s2
	s_cbranch_execz .LBB0_4
; %bb.3:                                ;   in Loop: Header=BB0_2 Depth=1
	s_cvt_f32_u32 s2, s18
	s_cvt_f32_u32 s21, s19
	s_sub_nc_u64 s[24:25], 0, s[18:19]
	s_wait_alu 0xfffe
	s_delay_alu instid0(SALU_CYCLE_1) | instskip(SKIP_1) | instid1(SALU_CYCLE_2)
	s_fmamk_f32 s2, s21, 0x4f800000, s2
	s_wait_alu 0xfffe
	v_s_rcp_f32 s2, s2
	s_delay_alu instid0(TRANS32_DEP_1) | instskip(SKIP_1) | instid1(SALU_CYCLE_2)
	s_mul_f32 s2, s2, 0x5f7ffffc
	s_wait_alu 0xfffe
	s_mul_f32 s21, s2, 0x2f800000
	s_wait_alu 0xfffe
	s_delay_alu instid0(SALU_CYCLE_2) | instskip(SKIP_1) | instid1(SALU_CYCLE_2)
	s_trunc_f32 s21, s21
	s_wait_alu 0xfffe
	s_fmamk_f32 s2, s21, 0xcf800000, s2
	s_cvt_u32_f32 s23, s21
	s_wait_alu 0xfffe
	s_delay_alu instid0(SALU_CYCLE_1) | instskip(SKIP_1) | instid1(SALU_CYCLE_2)
	s_cvt_u32_f32 s22, s2
	s_wait_alu 0xfffe
	s_mul_u64 s[26:27], s[24:25], s[22:23]
	s_wait_alu 0xfffe
	s_mul_hi_u32 s29, s22, s27
	s_mul_i32 s28, s22, s27
	s_mul_hi_u32 s2, s22, s26
	s_mul_i32 s30, s23, s26
	s_wait_alu 0xfffe
	s_add_nc_u64 s[28:29], s[2:3], s[28:29]
	s_mul_hi_u32 s21, s23, s26
	s_mul_hi_u32 s31, s23, s27
	s_add_co_u32 s2, s28, s30
	s_wait_alu 0xfffe
	s_add_co_ci_u32 s2, s29, s21
	s_mul_i32 s26, s23, s27
	s_add_co_ci_u32 s27, s31, 0
	s_wait_alu 0xfffe
	s_add_nc_u64 s[26:27], s[2:3], s[26:27]
	s_wait_alu 0xfffe
	v_add_co_u32 v4, s2, s22, s26
	s_delay_alu instid0(VALU_DEP_1) | instskip(SKIP_1) | instid1(VALU_DEP_1)
	s_cmp_lg_u32 s2, 0
	s_add_co_ci_u32 s23, s23, s27
	v_readfirstlane_b32 s22, v4
	s_wait_alu 0xfffe
	s_delay_alu instid0(VALU_DEP_1)
	s_mul_u64 s[24:25], s[24:25], s[22:23]
	s_wait_alu 0xfffe
	s_mul_hi_u32 s27, s22, s25
	s_mul_i32 s26, s22, s25
	s_mul_hi_u32 s2, s22, s24
	s_mul_i32 s28, s23, s24
	s_wait_alu 0xfffe
	s_add_nc_u64 s[26:27], s[2:3], s[26:27]
	s_mul_hi_u32 s21, s23, s24
	s_mul_hi_u32 s22, s23, s25
	s_wait_alu 0xfffe
	s_add_co_u32 s2, s26, s28
	s_add_co_ci_u32 s2, s27, s21
	s_mul_i32 s24, s23, s25
	s_add_co_ci_u32 s25, s22, 0
	s_wait_alu 0xfffe
	s_add_nc_u64 s[24:25], s[2:3], s[24:25]
	s_wait_alu 0xfffe
	v_add_co_u32 v4, s2, v4, s24
	s_delay_alu instid0(VALU_DEP_1) | instskip(SKIP_1) | instid1(VALU_DEP_1)
	s_cmp_lg_u32 s2, 0
	s_add_co_ci_u32 s2, s23, s25
	v_mul_hi_u32 v13, v5, v4
	s_wait_alu 0xfffe
	v_mad_co_u64_u32 v[7:8], null, v5, s2, 0
	v_mad_co_u64_u32 v[9:10], null, v6, v4, 0
	;; [unrolled: 1-line block ×3, first 2 shown]
	s_delay_alu instid0(VALU_DEP_3) | instskip(SKIP_1) | instid1(VALU_DEP_4)
	v_add_co_u32 v4, vcc_lo, v13, v7
	s_wait_alu 0xfffd
	v_add_co_ci_u32_e32 v7, vcc_lo, 0, v8, vcc_lo
	s_delay_alu instid0(VALU_DEP_2) | instskip(SKIP_1) | instid1(VALU_DEP_2)
	v_add_co_u32 v4, vcc_lo, v4, v9
	s_wait_alu 0xfffd
	v_add_co_ci_u32_e32 v4, vcc_lo, v7, v10, vcc_lo
	s_wait_alu 0xfffd
	v_add_co_ci_u32_e32 v7, vcc_lo, 0, v12, vcc_lo
	s_delay_alu instid0(VALU_DEP_2) | instskip(SKIP_1) | instid1(VALU_DEP_2)
	v_add_co_u32 v4, vcc_lo, v4, v11
	s_wait_alu 0xfffd
	v_add_co_ci_u32_e32 v9, vcc_lo, 0, v7, vcc_lo
	s_delay_alu instid0(VALU_DEP_2) | instskip(SKIP_1) | instid1(VALU_DEP_3)
	v_mul_lo_u32 v10, s19, v4
	v_mad_co_u64_u32 v[7:8], null, s18, v4, 0
	v_mul_lo_u32 v11, s18, v9
	s_delay_alu instid0(VALU_DEP_2) | instskip(NEXT) | instid1(VALU_DEP_2)
	v_sub_co_u32 v7, vcc_lo, v5, v7
	v_add3_u32 v8, v8, v11, v10
	s_delay_alu instid0(VALU_DEP_1) | instskip(SKIP_1) | instid1(VALU_DEP_1)
	v_sub_nc_u32_e32 v10, v6, v8
	s_wait_alu 0xfffd
	v_subrev_co_ci_u32_e64 v10, s2, s19, v10, vcc_lo
	v_add_co_u32 v11, s2, v4, 2
	s_wait_alu 0xf1ff
	v_add_co_ci_u32_e64 v12, s2, 0, v9, s2
	v_sub_co_u32 v13, s2, v7, s18
	v_sub_co_ci_u32_e32 v8, vcc_lo, v6, v8, vcc_lo
	s_wait_alu 0xf1ff
	v_subrev_co_ci_u32_e64 v10, s2, 0, v10, s2
	s_delay_alu instid0(VALU_DEP_3) | instskip(NEXT) | instid1(VALU_DEP_3)
	v_cmp_le_u32_e32 vcc_lo, s18, v13
	v_cmp_eq_u32_e64 s2, s19, v8
	s_wait_alu 0xfffd
	v_cndmask_b32_e64 v13, 0, -1, vcc_lo
	v_cmp_le_u32_e32 vcc_lo, s19, v10
	s_wait_alu 0xfffd
	v_cndmask_b32_e64 v15, 0, -1, vcc_lo
	v_cmp_le_u32_e32 vcc_lo, s18, v7
	;; [unrolled: 3-line block ×3, first 2 shown]
	s_wait_alu 0xfffd
	v_cndmask_b32_e64 v16, 0, -1, vcc_lo
	v_cmp_eq_u32_e32 vcc_lo, s19, v10
	s_wait_alu 0xf1ff
	s_delay_alu instid0(VALU_DEP_2)
	v_cndmask_b32_e64 v7, v16, v7, s2
	s_wait_alu 0xfffd
	v_cndmask_b32_e32 v10, v15, v13, vcc_lo
	v_add_co_u32 v13, vcc_lo, v4, 1
	s_wait_alu 0xfffd
	v_add_co_ci_u32_e32 v15, vcc_lo, 0, v9, vcc_lo
	s_delay_alu instid0(VALU_DEP_3) | instskip(SKIP_2) | instid1(VALU_DEP_3)
	v_cmp_ne_u32_e32 vcc_lo, 0, v10
	s_wait_alu 0xfffd
	v_cndmask_b32_e32 v10, v13, v11, vcc_lo
	v_cndmask_b32_e32 v8, v15, v12, vcc_lo
	v_cmp_ne_u32_e32 vcc_lo, 0, v7
	s_wait_alu 0xfffd
	s_delay_alu instid0(VALU_DEP_2)
	v_dual_cndmask_b32 v7, v4, v10 :: v_dual_cndmask_b32 v8, v9, v8
.LBB0_4:                                ;   in Loop: Header=BB0_2 Depth=1
	s_wait_alu 0xfffe
	s_and_not1_saveexec_b32 s2, s20
	s_cbranch_execz .LBB0_6
; %bb.5:                                ;   in Loop: Header=BB0_2 Depth=1
	v_cvt_f32_u32_e32 v4, s18
	s_sub_co_i32 s20, 0, s18
	s_delay_alu instid0(VALU_DEP_1) | instskip(NEXT) | instid1(TRANS32_DEP_1)
	v_rcp_iflag_f32_e32 v4, v4
	v_mul_f32_e32 v4, 0x4f7ffffe, v4
	s_delay_alu instid0(VALU_DEP_1) | instskip(SKIP_1) | instid1(VALU_DEP_1)
	v_cvt_u32_f32_e32 v4, v4
	s_wait_alu 0xfffe
	v_mul_lo_u32 v7, s20, v4
	s_delay_alu instid0(VALU_DEP_1) | instskip(NEXT) | instid1(VALU_DEP_1)
	v_mul_hi_u32 v7, v4, v7
	v_add_nc_u32_e32 v4, v4, v7
	s_delay_alu instid0(VALU_DEP_1) | instskip(NEXT) | instid1(VALU_DEP_1)
	v_mul_hi_u32 v4, v5, v4
	v_mul_lo_u32 v7, v4, s18
	v_add_nc_u32_e32 v8, 1, v4
	s_delay_alu instid0(VALU_DEP_2) | instskip(NEXT) | instid1(VALU_DEP_1)
	v_sub_nc_u32_e32 v7, v5, v7
	v_subrev_nc_u32_e32 v9, s18, v7
	v_cmp_le_u32_e32 vcc_lo, s18, v7
	s_wait_alu 0xfffd
	s_delay_alu instid0(VALU_DEP_2) | instskip(NEXT) | instid1(VALU_DEP_1)
	v_dual_cndmask_b32 v7, v7, v9 :: v_dual_cndmask_b32 v4, v4, v8
	v_cmp_le_u32_e32 vcc_lo, s18, v7
	s_delay_alu instid0(VALU_DEP_2) | instskip(SKIP_1) | instid1(VALU_DEP_1)
	v_add_nc_u32_e32 v8, 1, v4
	s_wait_alu 0xfffd
	v_dual_cndmask_b32 v7, v4, v8 :: v_dual_mov_b32 v8, v3
.LBB0_6:                                ;   in Loop: Header=BB0_2 Depth=1
	s_wait_alu 0xfffe
	s_or_b32 exec_lo, exec_lo, s2
	s_load_b64 s[20:21], s[12:13], 0x0
	s_delay_alu instid0(VALU_DEP_1)
	v_mul_lo_u32 v4, v8, s18
	v_mul_lo_u32 v11, v7, s19
	v_mad_co_u64_u32 v[9:10], null, v7, s18, 0
	s_add_nc_u64 s[14:15], s[14:15], 1
	s_add_nc_u64 s[12:13], s[12:13], 8
	s_wait_alu 0xfffe
	v_cmp_ge_u64_e64 s2, s[14:15], s[6:7]
	s_add_nc_u64 s[16:17], s[16:17], 8
	s_delay_alu instid0(VALU_DEP_2) | instskip(NEXT) | instid1(VALU_DEP_3)
	v_add3_u32 v4, v10, v11, v4
	v_sub_co_u32 v5, vcc_lo, v5, v9
	s_wait_alu 0xfffd
	s_delay_alu instid0(VALU_DEP_2) | instskip(SKIP_3) | instid1(VALU_DEP_2)
	v_sub_co_ci_u32_e32 v4, vcc_lo, v6, v4, vcc_lo
	s_and_b32 vcc_lo, exec_lo, s2
	s_wait_kmcnt 0x0
	v_mul_lo_u32 v6, s21, v5
	v_mul_lo_u32 v4, s20, v4
	v_mad_co_u64_u32 v[1:2], null, s20, v5, v[1:2]
	s_delay_alu instid0(VALU_DEP_1)
	v_add3_u32 v2, v6, v2, v4
	s_wait_alu 0xfffe
	s_cbranch_vccnz .LBB0_9
; %bb.7:                                ;   in Loop: Header=BB0_2 Depth=1
	v_dual_mov_b32 v5, v7 :: v_dual_mov_b32 v6, v8
	s_branch .LBB0_2
.LBB0_8:
	v_dual_mov_b32 v8, v6 :: v_dual_mov_b32 v7, v5
.LBB0_9:
	s_lshl_b64 s[2:3], s[6:7], 3
	v_and_b32_e32 v0, 15, v0
	s_wait_alu 0xfffe
	s_add_nc_u64 s[2:3], s[10:11], s[2:3]
	s_load_b64 s[2:3], s[2:3], 0x0
	s_load_b64 s[0:1], s[0:1], 0x20
	v_or_b32_e32 v4, 16, v0
	v_or_b32_e32 v10, 48, v0
	;; [unrolled: 1-line block ×4, first 2 shown]
	s_wait_kmcnt 0x0
	v_mul_lo_u32 v5, s2, v8
	v_mul_lo_u32 v9, s3, v7
	v_mad_co_u64_u32 v[2:3], null, s2, v7, v[1:2]
	v_cmp_gt_u64_e32 vcc_lo, s[0:1], v[7:8]
	v_cmp_le_u64_e64 s0, s[0:1], v[7:8]
	v_or_b32_e32 v8, 0x50, v0
	s_delay_alu instid0(VALU_DEP_4) | instskip(NEXT) | instid1(VALU_DEP_3)
	v_add3_u32 v3, v9, v3, v5
	s_and_saveexec_b32 s1, s0
	s_wait_alu 0xfffe
	s_xor_b32 s0, exec_lo, s1
; %bb.10:
	v_mov_b32_e32 v1, 0
	v_or_b32_e32 v4, 16, v0
	v_or_b32_e32 v10, 48, v0
	;; [unrolled: 1-line block ×5, first 2 shown]
	v_mov_b32_e32 v5, v1
	v_mov_b32_e32 v13, v1
	;; [unrolled: 1-line block ×5, first 2 shown]
; %bb.11:
	s_wait_alu 0xfffe
	s_or_saveexec_b32 s1, s0
	v_mul_u32_u24_e32 v14, 0xc1, v14
	v_lshlrev_b64_e32 v[2:3], 2, v[2:3]
	v_lshlrev_b32_e32 v17, 2, v0
	s_delay_alu instid0(VALU_DEP_3)
	v_lshlrev_b32_e32 v14, 2, v14
	s_wait_alu 0xfffe
	s_xor_b32 exec_lo, exec_lo, s1
	s_cbranch_execz .LBB0_13
; %bb.12:
	v_add_co_u32 v1, s0, s8, v2
	s_wait_alu 0xf1ff
	v_add_co_ci_u32_e64 v5, s0, s9, v3, s0
	s_delay_alu instid0(VALU_DEP_2) | instskip(SKIP_1) | instid1(VALU_DEP_2)
	v_add_co_u32 v15, s0, v1, v17
	s_wait_alu 0xf1ff
	v_add_co_ci_u32_e64 v16, s0, 0, v5, s0
	v_mov_b32_e32 v1, 0
	s_clause 0xb
	global_load_b32 v18, v[15:16], off
	global_load_b32 v19, v[15:16], off offset:64
	global_load_b32 v20, v[15:16], off offset:128
	;; [unrolled: 1-line block ×11, first 2 shown]
	v_add3_u32 v16, 0, v14, v17
	v_mov_b32_e32 v5, v1
	v_mov_b32_e32 v13, v1
	;; [unrolled: 1-line block ×5, first 2 shown]
	s_wait_loadcnt 0xa
	ds_store_2addr_b32 v16, v18, v19 offset1:16
	s_wait_loadcnt 0x8
	ds_store_2addr_b32 v16, v20, v21 offset0:32 offset1:48
	s_wait_loadcnt 0x6
	ds_store_2addr_b32 v16, v22, v23 offset0:64 offset1:80
	s_wait_loadcnt 0x4
	ds_store_2addr_b32 v16, v24, v25 offset0:96 offset1:112
	s_wait_loadcnt 0x2
	ds_store_2addr_b32 v16, v26, v27 offset0:128 offset1:144
	s_wait_loadcnt 0x0
	ds_store_2addr_b32 v16, v28, v15 offset0:160 offset1:176
.LBB0_13:
	s_or_b32 exec_lo, exec_lo, s1
	v_add3_u32 v20, 0, v17, v14
	global_wb scope:SCOPE_SE
	s_wait_dscnt 0x0
	s_barrier_signal -1
	s_barrier_wait -1
	global_inv scope:SCOPE_SE
	ds_load_2addr_b32 v[15:16], v20 offset0:16 offset1:32
	ds_load_2addr_b32 v[21:22], v20 offset0:48 offset1:64
	;; [unrolled: 1-line block ×5, first 2 shown]
	v_add_nc_u32_e32 v19, 0, v14
	ds_load_b32 v14, v20 offset:704
	v_mul_i32_i24_e32 v29, 6, v4
	v_mad_u32_u24 v31, v0, 20, v20
	v_cmp_gt_u32_e64 s0, 24, v4
	v_add_nc_u32_e32 v18, v19, v17
	s_delay_alu instid0(VALU_DEP_4)
	v_lshl_add_u32 v32, v29, 2, v19
	ds_load_b32 v30, v18
	global_wb scope:SCOPE_SE
	s_wait_dscnt 0x0
	s_barrier_signal -1
	s_barrier_wait -1
	global_inv scope:SCOPE_SE
	v_pk_add_f16 v35, v16, v24
	v_pk_add_f16 v36, v22, v26
	;; [unrolled: 1-line block ×3, first 2 shown]
	v_pk_add_f16 v24, v24, v28 neg_lo:[0,1] neg_hi:[0,1]
	v_pk_add_f16 v33, v21, v25
	v_pk_add_f16 v37, v22, v26 neg_lo:[0,1] neg_hi:[0,1]
	v_pk_add_f16 v38, v25, v14
	v_pk_fma_f16 v16, v34, 0.5, v16 op_sel_hi:[1,0,1] neg_lo:[1,0,0] neg_hi:[1,0,0]
	v_pk_add_f16 v25, v25, v14 neg_lo:[0,1] neg_hi:[0,1]
	v_pk_add_f16 v14, v33, v14
	v_pk_add_f16 v28, v35, v28
	v_pk_fma_f16 v21, v38, 0.5, v21 op_sel_hi:[1,0,1] neg_lo:[1,0,0] neg_hi:[1,0,0]
	v_pk_fma_f16 v39, 0x3aee, v24, v16 op_sel:[0,0,1] op_sel_hi:[0,1,0] neg_lo:[0,1,0] neg_hi:[0,1,0]
	v_pk_fma_f16 v36, v36, 0.5, v30 op_sel_hi:[1,0,1] neg_lo:[1,0,0] neg_hi:[1,0,0]
	v_pk_fma_f16 v16, 0x3aee, v24, v16 op_sel:[0,0,1] op_sel_hi:[0,1,0]
	v_pk_add_f16 v22, v30, v22
	v_pk_add_f16 v34, v23, v27
	v_pk_mul_f16 v24, 0x3aee, v39 op_sel_hi:[0,1]
	v_pk_fma_f16 v30, 0x3aee, v37, v36 op_sel:[0,0,1] op_sel_hi:[0,1,0] neg_lo:[0,1,0] neg_hi:[0,1,0]
	v_lshrrev_b32_e32 v33, 16, v39
	v_lshrrev_b32_e32 v40, 16, v16
	v_mul_f16_e32 v39, -0.5, v39
	v_pk_fma_f16 v41, 0xb8003800, v16, v24 op_sel:[0,0,1] op_sel_hi:[1,1,0]
	v_pk_fma_f16 v24, 0xb8003800, v16, v24 op_sel:[0,0,1] op_sel_hi:[1,1,0] neg_lo:[0,0,1] neg_hi:[0,0,1]
	v_mul_f16_e32 v16, 0x3aee, v16
	v_pk_fma_f16 v36, 0x3aee, v37, v36 op_sel:[0,0,1] op_sel_hi:[0,1,0]
	v_lshrrev_b32_e32 v37, 16, v30
	v_fmac_f16_e32 v39, 0x3aee, v40
	v_bfi_b32 v40, 0xffff, v41, v24
	v_fma_f16 v16, v33, 0.5, -v16
	v_pk_add_f16 v22, v22, v26
	v_pk_add_f16 v29, v15, v23
	v_add_f16_e32 v26, v30, v39
	v_pk_add_f16 v33, v36, v40
	v_add_f16_e32 v35, v37, v16
	v_pk_add_f16 v38, v22, v28
	v_pk_add_f16 v22, v22, v28 neg_lo:[0,1] neg_hi:[0,1]
	v_alignbit_b32 v28, v36, v30, 16
	v_alignbit_b32 v26, v26, v33, 16
	v_pack_b32_f16 v33, v35, v33
	v_pk_fma_f16 v35, 0x3aee, v25, v21 op_sel:[0,0,1] op_sel_hi:[0,1,0] neg_lo:[0,1,0] neg_hi:[0,1,0]
	v_pack_b32_f16 v16, v16, v41
	v_pk_fma_f16 v15, v34, 0.5, v15 op_sel_hi:[1,0,1] neg_lo:[1,0,0] neg_hi:[1,0,0]
	v_pk_add_f16 v23, v23, v27 neg_lo:[0,1] neg_hi:[0,1]
	v_pk_fma_f16 v21, 0x3aee, v25, v21 op_sel:[0,0,1] op_sel_hi:[0,1,0]
	v_pk_mul_f16 v25, 0x3aee, v35 op_sel_hi:[0,1]
	v_pk_add_f16 v29, v29, v27
	v_pk_add_f16 v16, v28, v16 neg_lo:[0,1] neg_hi:[0,1]
	v_alignbit_b32 v27, v30, v36, 16
	v_alignbit_b32 v24, v39, v24, 16
	v_pk_fma_f16 v28, 0x3aee, v23, v15 op_sel:[0,0,1] op_sel_hi:[0,1,0] neg_lo:[0,1,0] neg_hi:[0,1,0]
	v_pk_fma_f16 v30, 0xb8003800, v21, v25 op_sel:[0,0,1] op_sel_hi:[1,1,0]
	v_pk_fma_f16 v25, 0xb8003800, v21, v25 op_sel:[0,0,1] op_sel_hi:[1,1,0] neg_lo:[0,0,1] neg_hi:[0,0,1]
	v_lshrrev_b32_e32 v34, 16, v21
	v_mul_f16_e32 v36, -0.5, v35
	v_pk_fma_f16 v15, 0x3aee, v23, v15 op_sel:[0,0,1] op_sel_hi:[0,1,0]
	v_lshrrev_b32_e32 v23, 16, v35
	v_mul_f16_e32 v21, 0x3aee, v21
	v_bfi_b32 v35, 0xffff, v30, v25
	v_fmac_f16_e32 v36, 0x3aee, v34
	v_pk_add_f16 v24, v27, v24 neg_lo:[0,1] neg_hi:[0,1]
	v_lshrrev_b32_e32 v27, 16, v28
	v_fma_f16 v21, v23, 0.5, -v21
	v_pk_add_f16 v23, v15, v35
	v_add_f16_e32 v34, v28, v36
	ds_store_2addr_b32 v31, v33, v26 offset0:1 offset1:2
	ds_store_2addr_b32 v31, v22, v16 offset0:3 offset1:4
	ds_store_2addr_b32 v31, v38, v24 offset1:5
	v_mov_b32_e32 v33, 0
	v_add_f16_e32 v16, v27, v21
	v_and_b32_e32 v24, 0xff, v4
	v_mul_lo_u16 v26, v0, 43
	v_and_b32_e32 v27, 0xff, v12
	v_alignbit_b32 v22, v34, v23, 16
	v_pack_b32_f16 v16, v16, v23
	v_mul_lo_u16 v23, 0xab, v24
	v_lshrrev_b16 v34, 8, v26
	v_mul_lo_u16 v24, 0xab, v27
	v_alignbit_b32 v26, v15, v28, 16
	v_pack_b32_f16 v21, v21, v30
	v_lshrrev_b16 v35, 10, v23
	v_mul_lo_u16 v23, v34, 6
	v_lshrrev_b16 v38, 10, v24
	v_alignbit_b32 v24, v36, v25, 16
	v_alignbit_b32 v15, v28, v15, 16
	v_mul_lo_u16 v25, v35, 6
	v_sub_nc_u16 v36, v0, v23
	v_mul_lo_u16 v23, v38, 6
	v_pk_add_f16 v37, v29, v14
	v_pk_add_f16 v14, v29, v14 neg_lo:[0,1] neg_hi:[0,1]
	v_sub_nc_u16 v39, v4, v25
	v_pk_add_f16 v21, v26, v21 neg_lo:[0,1] neg_hi:[0,1]
	v_sub_nc_u16 v40, v12, v23
	v_pk_add_f16 v15, v15, v24 neg_lo:[0,1] neg_hi:[0,1]
	v_mul_lo_u16 v24, v36, 3
	ds_store_2addr_b32 v32, v16, v22 offset0:1 offset1:2
	ds_store_2addr_b32 v32, v14, v21 offset0:3 offset1:4
	v_mul_lo_u16 v14, v39, 3
	v_mul_lo_u16 v16, v40, 3
	ds_store_2addr_b32 v32, v37, v15 offset1:5
	v_and_b32_e32 v15, 0xff, v24
	global_wb scope:SCOPE_SE
	s_wait_dscnt 0x0
	v_and_b32_e32 v14, 0xff, v14
	v_and_b32_e32 v21, 0xff, v16
	s_barrier_signal -1
	v_lshlrev_b32_e32 v15, 2, v15
	s_barrier_wait -1
	v_lshlrev_b32_e32 v22, 2, v14
	v_lshlrev_b32_e32 v21, 2, v21
	global_inv scope:SCOPE_SE
	s_clause 0x2
	global_load_b96 v[14:16], v15, s[4:5]
	global_load_b96 v[26:28], v22, s[4:5]
	;; [unrolled: 1-line block ×3, first 2 shown]
	v_add_nc_u32_e32 v25, -8, v0
	v_mul_lo_u16 v34, v34, 24
	v_mul_lo_u16 v35, v35, 24
	;; [unrolled: 1-line block ×3, first 2 shown]
	v_lshl_add_u32 v23, v10, 2, v19
	s_wait_alu 0xf1ff
	v_cndmask_b32_e64 v43, v25, v4, s0
	v_mad_i32_i24 v25, 0xffffffec, v4, v32
	v_lshl_add_u32 v22, v6, 2, v19
	v_lshl_add_u32 v24, v12, 2, v19
	;; [unrolled: 1-line block ×3, first 2 shown]
	v_or_b32_e32 v42, v34, v36
	v_or_b32_e32 v44, v35, v39
	v_or_b32_e32 v40, v37, v40
	ds_load_2addr_b32 v[34:35], v20 offset0:96 offset1:112
	ds_load_2addr_b32 v[36:37], v20 offset0:160 offset1:176
	ds_load_b32 v45, v18
	ds_load_b32 v46, v23
	;; [unrolled: 1-line block ×6, first 2 shown]
	ds_load_2addr_b32 v[38:39], v20 offset0:128 offset1:144
	v_mul_i32_i24_e32 v32, 3, v43
	v_mul_u32_u24_e32 v41, 3, v0
	v_and_b32_e32 v42, 0xff, v42
	v_and_b32_e32 v44, 0xff, v44
	;; [unrolled: 1-line block ×3, first 2 shown]
	v_lshlrev_b64_e32 v[32:33], 2, v[32:33]
	v_lshlrev_b32_e32 v41, 2, v41
	v_lshl_add_u32 v42, v42, 2, v19
	v_lshl_add_u32 v44, v44, 2, v19
	;; [unrolled: 1-line block ×3, first 2 shown]
	global_wb scope:SCOPE_SE
	s_wait_loadcnt_dscnt 0x0
	v_lshrrev_b32_e32 v57, 16, v34
	v_lshrrev_b32_e32 v51, 16, v35
	;; [unrolled: 1-line block ×12, first 2 shown]
	v_add_co_u32 v32, s0, s4, v32
	s_wait_alu 0xf1ff
	v_add_co_ci_u32_e64 v33, s0, s5, v33, s0
	s_barrier_signal -1
	s_barrier_wait -1
	global_inv scope:SCOPE_SE
	v_cmp_lt_u32_e64 s0, 23, v4
	v_lshrrev_b32_e32 v63, 16, v14
	v_lshrrev_b32_e32 v64, 16, v15
	;; [unrolled: 1-line block ×9, first 2 shown]
	v_mul_f16_e32 v72, v63, v56
	v_mul_f16_e32 v63, v63, v46
	;; [unrolled: 1-line block ×18, first 2 shown]
	v_fmac_f16_e32 v72, v14, v46
	v_fma_f16 v14, v14, v56, -v63
	v_fmac_f16_e32 v73, v15, v34
	v_fma_f16 v15, v15, v57, -v64
	;; [unrolled: 2-line block ×9, first 2 shown]
	v_sub_f16_e32 v34, v45, v73
	v_sub_f16_e32 v15, v60, v15
	;; [unrolled: 1-line block ×12, first 2 shown]
	v_fma_f16 v45, v45, 2.0, -v34
	v_fma_f16 v46, v60, 2.0, -v15
	;; [unrolled: 1-line block ×12, first 2 shown]
	v_add_f16_e32 v16, v34, v16
	v_sub_f16_e32 v35, v15, v35
	v_add_f16_e32 v28, v36, v28
	v_sub_f16_e32 v37, v27, v37
	v_sub_f16_e32 v48, v45, v48
	;; [unrolled: 1-line block ×3, first 2 shown]
	v_add_f16_e32 v31, v38, v31
	v_sub_f16_e32 v39, v30, v39
	v_sub_f16_e32 v51, v47, v51
	;; [unrolled: 1-line block ×5, first 2 shown]
	v_fma_f16 v34, v34, 2.0, -v16
	v_fma_f16 v15, v15, 2.0, -v35
	;; [unrolled: 1-line block ×4, first 2 shown]
	v_pack_b32_f16 v16, v16, v35
	v_pack_b32_f16 v28, v28, v37
	v_fma_f16 v35, v45, 2.0, -v48
	v_fma_f16 v37, v46, 2.0, -v14
	;; [unrolled: 1-line block ×4, first 2 shown]
	v_pack_b32_f16 v31, v31, v39
	v_fma_f16 v39, v47, 2.0, -v51
	v_fma_f16 v45, v50, 2.0, -v26
	;; [unrolled: 1-line block ×4, first 2 shown]
	v_pack_b32_f16 v14, v48, v14
	v_pack_b32_f16 v15, v34, v15
	;; [unrolled: 1-line block ×9, first 2 shown]
	ds_store_2addr_b32 v42, v14, v16 offset0:12 offset1:18
	ds_store_2addr_b32 v42, v34, v15 offset1:6
	ds_store_2addr_b32 v44, v35, v27 offset1:6
	ds_store_2addr_b32 v44, v26, v28 offset0:12 offset1:18
	ds_store_2addr_b32 v40, v36, v30 offset1:6
	ds_store_2addr_b32 v40, v29, v31 offset0:12 offset1:18
	global_wb scope:SCOPE_SE
	s_wait_dscnt 0x0
	s_barrier_signal -1
	s_barrier_wait -1
	global_inv scope:SCOPE_SE
	s_clause 0x2
	global_load_b96 v[26:28], v41, s[4:5] offset:72
	global_load_b96 v[29:31], v[32:33], off offset:72
	global_load_b96 v[32:34], v41, s[4:5] offset:168
	v_lshlrev_b64_e32 v[15:16], 2, v[0:1]
	v_lshlrev_b64_e32 v[35:36], 2, v[4:5]
	s_wait_alu 0xf1ff
	v_cndmask_b32_e64 v44, 0, 0x60, s0
	v_lshlrev_b64_e32 v[37:38], 2, v[12:13]
	v_lshlrev_b64_e32 v[39:40], 2, v[10:11]
	;; [unrolled: 1-line block ×3, first 2 shown]
	v_add_co_u32 v15, s0, s4, v15
	s_wait_alu 0xf1ff
	v_add_co_ci_u32_e64 v16, s0, s5, v16, s0
	v_add_co_u32 v13, s0, s4, v35
	s_wait_alu 0xf1ff
	v_add_co_ci_u32_e64 v14, s0, s5, v36, s0
	;; [unrolled: 3-line block ×3, first 2 shown]
	v_add_co_u32 v9, s0, s4, v39
	ds_load_2addr_b32 v[35:36], v20 offset0:128 offset1:144
	ds_load_2addr_b32 v[37:38], v20 offset0:160 offset1:176
	ds_load_b32 v1, v18
	ds_load_b32 v45, v23
	ds_load_b32 v46, v25
	ds_load_b32 v47, v22
	ds_load_b32 v48, v24
	ds_load_b32 v49, v21
	s_wait_alu 0xf1ff
	v_add_co_ci_u32_e64 v10, s0, s5, v40, s0
	ds_load_2addr_b32 v[39:40], v20 offset0:96 offset1:112
	v_lshlrev_b64_e32 v[5:6], 2, v[6:7]
	v_or_b32_e32 v43, v44, v43
	global_wb scope:SCOPE_SE
	s_wait_loadcnt_dscnt 0x0
	s_barrier_signal -1
	s_barrier_wait -1
	global_inv scope:SCOPE_SE
	v_add_co_u32 v7, s0, s4, v5
	s_wait_alu 0xf1ff
	v_add_co_ci_u32_e64 v8, s0, s5, v6, s0
	v_add_co_u32 v5, s0, s4, v41
	v_lshrrev_b32_e32 v51, 16, v45
	v_lshrrev_b32_e32 v53, 16, v36
	s_wait_alu 0xf1ff
	v_add_co_ci_u32_e64 v6, s0, s5, v42, s0
	v_lshrrev_b32_e32 v42, 16, v37
	v_lshrrev_b32_e32 v54, 16, v47
	v_lshl_add_u32 v41, v43, 2, v19
	v_lshrrev_b32_e32 v52, 16, v39
	v_lshrrev_b32_e32 v55, 16, v40
	;; [unrolled: 1-line block ×8, first 2 shown]
	v_cmp_ne_u32_e64 s0, 0, v0
	v_lshrrev_b32_e32 v59, 16, v26
	v_lshrrev_b32_e32 v60, 16, v27
	;; [unrolled: 1-line block ×9, first 2 shown]
	v_mul_f16_e32 v68, v59, v51
	v_mul_f16_e32 v59, v59, v45
	;; [unrolled: 1-line block ×18, first 2 shown]
	v_fmac_f16_e32 v68, v26, v45
	v_fma_f16 v26, v26, v51, -v59
	v_fmac_f16_e32 v69, v27, v39
	v_fma_f16 v27, v27, v52, -v60
	;; [unrolled: 2-line block ×9, first 2 shown]
	v_sub_f16_e32 v35, v1, v69
	v_sub_f16_e32 v27, v56, v27
	;; [unrolled: 1-line block ×12, first 2 shown]
	v_fma_f16 v1, v1, 2.0, -v35
	v_fma_f16 v42, v56, 2.0, -v27
	;; [unrolled: 1-line block ×12, first 2 shown]
	v_add_f16_e32 v28, v35, v28
	v_sub_f16_e32 v36, v27, v36
	v_sub_f16_e32 v43, v1, v43
	;; [unrolled: 1-line block ×3, first 2 shown]
	v_add_f16_e32 v31, v37, v31
	v_sub_f16_e32 v38, v30, v38
	v_add_f16_e32 v34, v39, v34
	v_sub_f16_e32 v40, v33, v40
	v_sub_f16_e32 v46, v44, v46
	;; [unrolled: 1-line block ×5, first 2 shown]
	v_fma_f16 v35, v35, 2.0, -v28
	v_fma_f16 v27, v27, 2.0, -v36
	v_pack_b32_f16 v28, v28, v36
	v_fma_f16 v1, v1, 2.0, -v43
	v_fma_f16 v36, v42, 2.0, -v26
	;; [unrolled: 1-line block ×6, first 2 shown]
	v_pack_b32_f16 v31, v31, v38
	v_pack_b32_f16 v34, v34, v40
	v_fma_f16 v38, v44, 2.0, -v46
	v_fma_f16 v40, v45, 2.0, -v29
	;; [unrolled: 1-line block ×4, first 2 shown]
	v_pack_b32_f16 v26, v43, v26
	v_pack_b32_f16 v27, v35, v27
	;; [unrolled: 1-line block ×9, first 2 shown]
	ds_store_2addr_b32 v20, v26, v28 offset0:48 offset1:72
	ds_store_2addr_b32 v20, v1, v27 offset1:24
	ds_store_2addr_b32 v41, v35, v30 offset1:24
	ds_store_2addr_b32 v41, v29, v31 offset0:48 offset1:72
	ds_store_2addr_b32 v20, v36, v33 offset0:104 offset1:128
	;; [unrolled: 1-line block ×3, first 2 shown]
	global_wb scope:SCOPE_SE
	s_wait_dscnt 0x0
	s_barrier_signal -1
	s_barrier_wait -1
	global_inv scope:SCOPE_SE
	s_clause 0x5
	global_load_b32 v1, v[15:16], off offset:360
	global_load_b32 v32, v[5:6], off offset:360
	;; [unrolled: 1-line block ×6, first 2 shown]
	ds_load_2addr_b32 v[26:27], v20 offset0:96 offset1:112
	ds_load_2addr_b32 v[28:29], v20 offset0:160 offset1:176
	;; [unrolled: 1-line block ×3, first 2 shown]
	ds_load_b32 v37, v18
	ds_load_b32 v38, v21
	;; [unrolled: 1-line block ×6, first 2 shown]
	global_wb scope:SCOPE_SE
	s_wait_loadcnt_dscnt 0x0
	s_barrier_signal -1
	s_barrier_wait -1
	global_inv scope:SCOPE_SE
	v_pk_mul_f16 v43, v1, v26 op_sel:[0,1]
	v_pk_mul_f16 v44, v29, v32 op_sel:[0,1]
	;; [unrolled: 1-line block ×6, first 2 shown]
	v_pk_fma_f16 v49, v1, v26, v43 op_sel:[0,0,1] op_sel_hi:[1,1,0]
	v_pk_fma_f16 v1, v1, v26, v43 op_sel:[0,0,1] op_sel_hi:[1,0,0] neg_lo:[1,0,0] neg_hi:[1,0,0]
	v_pk_fma_f16 v26, v29, v32, v44 op_sel:[0,0,1] op_sel_hi:[1,1,0]
	v_pk_fma_f16 v29, v29, v32, v44 op_sel:[0,0,1] op_sel_hi:[1,0,0] neg_lo:[0,0,1] neg_hi:[0,0,1]
	;; [unrolled: 2-line block ×6, first 2 shown]
	v_bfi_b32 v1, 0xffff, v49, v1
	v_bfi_b32 v26, 0xffff, v26, v29
	;; [unrolled: 1-line block ×6, first 2 shown]
	v_pk_add_f16 v1, v37, v1 neg_lo:[0,1] neg_hi:[0,1]
	v_pk_add_f16 v30, v39, v30 neg_lo:[0,1] neg_hi:[0,1]
	;; [unrolled: 1-line block ×6, first 2 shown]
	v_pk_fma_f16 v31, v37, 2.0, v1 op_sel_hi:[1,0,1] neg_lo:[0,0,1] neg_hi:[0,0,1]
	v_pk_fma_f16 v34, v39, 2.0, v30 op_sel_hi:[1,0,1] neg_lo:[0,0,1] neg_hi:[0,0,1]
	;; [unrolled: 1-line block ×6, first 2 shown]
	ds_store_2addr_b32 v20, v31, v1 offset1:96
	ds_store_2addr_b32 v25, v33, v27 offset1:96
	ds_store_2addr_b32 v24, v34, v30 offset1:96
	ds_store_2addr_b32 v23, v35, v29 offset1:96
	ds_store_2addr_b32 v22, v36, v28 offset1:96
	ds_store_2addr_b32 v21, v32, v26 offset1:96
	global_wb scope:SCOPE_SE
	s_wait_dscnt 0x0
	s_barrier_signal -1
	s_barrier_wait -1
	global_inv scope:SCOPE_SE
	ds_load_b32 v27, v18
	v_sub_nc_u32_e32 v1, v19, v17
                                        ; implicit-def: $vgpr25
                                        ; implicit-def: $vgpr20
                                        ; implicit-def: $vgpr26
	s_and_saveexec_b32 s1, s0
	s_wait_alu 0xfffe
	s_xor_b32 s0, exec_lo, s1
	s_cbranch_execz .LBB0_15
; %bb.14:
	global_load_b32 v15, v[15:16], off offset:744
	ds_load_b32 v16, v1 offset:768
	s_wait_dscnt 0x0
	v_pk_add_f16 v20, v27, v16 neg_lo:[0,1] neg_hi:[0,1]
	v_pk_add_f16 v16, v16, v27
	s_delay_alu instid0(VALU_DEP_1) | instskip(SKIP_1) | instid1(VALU_DEP_2)
	v_bfi_b32 v25, 0xffff, v20, v16
	v_bfi_b32 v16, 0xffff, v16, v20
	v_pk_mul_f16 v25, v25, 0.5 op_sel_hi:[1,0]
	s_delay_alu instid0(VALU_DEP_2) | instskip(SKIP_1) | instid1(VALU_DEP_2)
	v_pk_mul_f16 v26, v16, 0.5 op_sel_hi:[1,0]
	s_wait_loadcnt 0x0
	v_pk_mul_f16 v20, v15, v25 op_sel:[1,0]
	v_pk_mul_f16 v15, v15, v25 op_sel_hi:[0,1]
	s_delay_alu instid0(VALU_DEP_3) | instskip(NEXT) | instid1(VALU_DEP_3)
	v_lshrrev_b32_e32 v25, 16, v26
	v_pk_fma_f16 v16, v16, 0.5, v20 op_sel_hi:[1,0,1]
	v_lshrrev_b32_e32 v27, 16, v20
	v_sub_f16_e32 v20, v26, v20
	v_lshrrev_b32_e32 v26, 16, v15
	s_delay_alu instid0(VALU_DEP_4) | instskip(SKIP_2) | instid1(VALU_DEP_4)
	v_pk_add_f16 v28, v16, v15 op_sel:[0,1] op_sel_hi:[1,0]
	v_pk_add_f16 v16, v16, v15 op_sel:[0,1] op_sel_hi:[1,0] neg_lo:[0,1] neg_hi:[0,1]
	v_sub_f16_e32 v27, v27, v25
	v_sub_f16_e32 v20, v20, v26
	s_delay_alu instid0(VALU_DEP_3) | instskip(NEXT) | instid1(VALU_DEP_3)
	v_bfi_b32 v25, 0xffff, v28, v16
	v_sub_f16_e32 v26, v27, v15
                                        ; implicit-def: $vgpr27
.LBB0_15:
	s_wait_alu 0xfffe
	s_and_not1_saveexec_b32 s0, s0
	s_cbranch_execz .LBB0_17
; %bb.16:
	ds_load_u16 v15, v19 offset:386
	s_wait_dscnt 0x1
	s_wait_alu 0xfffe
	v_alignbit_b32 v16, s0, v27, 16
	v_lshrrev_b32_e32 v20, 16, v27
	v_mov_b32_e32 v26, 0
	s_delay_alu instid0(VALU_DEP_3) | instskip(NEXT) | instid1(VALU_DEP_3)
	v_pk_add_f16 v16, v16, v27
	v_sub_f16_e32 v20, v27, v20
	s_delay_alu instid0(VALU_DEP_2)
	v_pack_b32_f16 v25, v16, 0
	s_wait_dscnt 0x0
	v_xor_b32_e32 v15, 0x8000, v15
	ds_store_b16 v19, v15 offset:386
.LBB0_17:
	s_wait_alu 0xfffe
	s_or_b32 exec_lo, exec_lo, s0
	s_clause 0x4
	global_load_b32 v13, v[13:14], off offset:744
	global_load_b32 v11, v[11:12], off offset:744
	;; [unrolled: 1-line block ×5, first 2 shown]
	v_lshl_add_u32 v4, v4, 2, v19
	ds_store_b16 v1, v26 offset:770
	ds_store_b32 v18, v25
	ds_store_b16 v1, v20 offset:768
	ds_load_b32 v6, v4
	ds_load_b32 v8, v1 offset:704
	s_wait_dscnt 0x0
	v_pk_add_f16 v10, v6, v8 neg_lo:[0,1] neg_hi:[0,1]
	v_pk_add_f16 v6, v6, v8
	s_delay_alu instid0(VALU_DEP_1) | instskip(SKIP_1) | instid1(VALU_DEP_2)
	v_bfi_b32 v8, 0xffff, v10, v6
	v_bfi_b32 v6, 0xffff, v6, v10
	v_pk_mul_f16 v8, v8, 0.5 op_sel_hi:[1,0]
	s_delay_alu instid0(VALU_DEP_2) | instskip(SKIP_1) | instid1(VALU_DEP_1)
	v_pk_mul_f16 v6, v6, 0.5 op_sel_hi:[1,0]
	s_wait_loadcnt 0x4
	v_pk_fma_f16 v10, v13, v8, v6 op_sel:[1,0,0]
	v_pk_mul_f16 v12, v13, v8 op_sel_hi:[0,1]
	v_pk_fma_f16 v14, v13, v8, v6 op_sel:[1,0,0] neg_lo:[1,0,0] neg_hi:[1,0,0]
	v_pk_fma_f16 v6, v13, v8, v6 op_sel:[1,0,0] neg_lo:[0,0,1] neg_hi:[0,0,1]
	s_delay_alu instid0(VALU_DEP_3) | instskip(SKIP_1) | instid1(VALU_DEP_4)
	v_pk_add_f16 v8, v10, v12 op_sel:[0,1] op_sel_hi:[1,0]
	v_pk_add_f16 v10, v10, v12 op_sel:[0,1] op_sel_hi:[1,0] neg_lo:[0,1] neg_hi:[0,1]
	v_pk_add_f16 v13, v14, v12 op_sel:[0,1] op_sel_hi:[1,0] neg_lo:[0,1] neg_hi:[0,1]
	s_delay_alu instid0(VALU_DEP_4) | instskip(NEXT) | instid1(VALU_DEP_3)
	v_pk_add_f16 v6, v6, v12 op_sel:[0,1] op_sel_hi:[1,0] neg_lo:[0,1] neg_hi:[0,1]
	v_bfi_b32 v8, 0xffff, v8, v10
	s_delay_alu instid0(VALU_DEP_2)
	v_bfi_b32 v6, 0xffff, v13, v6
	ds_store_b32 v4, v8
	ds_store_b32 v1, v6 offset:704
	ds_load_b32 v4, v24
	ds_load_b32 v6, v1 offset:640
	s_wait_dscnt 0x0
	v_pk_add_f16 v8, v4, v6 neg_lo:[0,1] neg_hi:[0,1]
	v_pk_add_f16 v4, v4, v6
	s_delay_alu instid0(VALU_DEP_1) | instskip(SKIP_1) | instid1(VALU_DEP_2)
	v_bfi_b32 v6, 0xffff, v8, v4
	v_bfi_b32 v4, 0xffff, v4, v8
	v_pk_mul_f16 v6, v6, 0.5 op_sel_hi:[1,0]
	s_delay_alu instid0(VALU_DEP_2) | instskip(SKIP_1) | instid1(VALU_DEP_2)
	v_pk_mul_f16 v4, v4, 0.5 op_sel_hi:[1,0]
	s_wait_loadcnt 0x3
	v_pk_mul_f16 v10, v11, v6 op_sel_hi:[0,1]
	s_delay_alu instid0(VALU_DEP_2) | instskip(SKIP_2) | instid1(VALU_DEP_3)
	v_pk_fma_f16 v8, v11, v6, v4 op_sel:[1,0,0]
	v_pk_fma_f16 v12, v11, v6, v4 op_sel:[1,0,0] neg_lo:[1,0,0] neg_hi:[1,0,0]
	v_pk_fma_f16 v4, v11, v6, v4 op_sel:[1,0,0] neg_lo:[0,0,1] neg_hi:[0,0,1]
	v_pk_add_f16 v6, v8, v10 op_sel:[0,1] op_sel_hi:[1,0]
	v_pk_add_f16 v8, v8, v10 op_sel:[0,1] op_sel_hi:[1,0] neg_lo:[0,1] neg_hi:[0,1]
	s_delay_alu instid0(VALU_DEP_4) | instskip(NEXT) | instid1(VALU_DEP_4)
	v_pk_add_f16 v11, v12, v10 op_sel:[0,1] op_sel_hi:[1,0] neg_lo:[0,1] neg_hi:[0,1]
	v_pk_add_f16 v4, v4, v10 op_sel:[0,1] op_sel_hi:[1,0] neg_lo:[0,1] neg_hi:[0,1]
	s_delay_alu instid0(VALU_DEP_3) | instskip(NEXT) | instid1(VALU_DEP_2)
	v_bfi_b32 v6, 0xffff, v6, v8
	v_bfi_b32 v4, 0xffff, v11, v4
	ds_store_b32 v24, v6
	ds_store_b32 v1, v4 offset:640
	ds_load_b32 v4, v23
	ds_load_b32 v6, v1 offset:576
	s_wait_dscnt 0x0
	v_pk_add_f16 v8, v4, v6 neg_lo:[0,1] neg_hi:[0,1]
	v_pk_add_f16 v4, v4, v6
	s_delay_alu instid0(VALU_DEP_1) | instskip(SKIP_1) | instid1(VALU_DEP_2)
	v_bfi_b32 v6, 0xffff, v8, v4
	v_bfi_b32 v4, 0xffff, v4, v8
	v_pk_mul_f16 v6, v6, 0.5 op_sel_hi:[1,0]
	s_delay_alu instid0(VALU_DEP_2) | instskip(SKIP_1) | instid1(VALU_DEP_2)
	v_pk_mul_f16 v8, v4, 0.5 op_sel_hi:[1,0]
	s_wait_loadcnt 0x2
	v_pk_mul_f16 v10, v9, v6 op_sel:[1,0]
	v_pk_mul_f16 v6, v9, v6 op_sel_hi:[0,1]
	s_delay_alu instid0(VALU_DEP_3) | instskip(NEXT) | instid1(VALU_DEP_3)
	v_lshrrev_b32_e32 v9, 16, v8
	v_lshrrev_b32_e32 v11, 16, v10
	v_pk_fma_f16 v4, v4, 0.5, v10 op_sel_hi:[1,0,1]
	v_sub_f16_e32 v8, v8, v10
	s_delay_alu instid0(VALU_DEP_3) | instskip(NEXT) | instid1(VALU_DEP_3)
	v_sub_f16_e32 v9, v11, v9
	v_pk_add_f16 v10, v4, v6 op_sel:[0,1] op_sel_hi:[1,0]
	v_pk_add_f16 v4, v4, v6 op_sel:[0,1] op_sel_hi:[1,0] neg_lo:[0,1] neg_hi:[0,1]
	v_lshrrev_b32_e32 v11, 16, v6
	s_delay_alu instid0(VALU_DEP_4) | instskip(NEXT) | instid1(VALU_DEP_3)
	v_sub_f16_e32 v6, v9, v6
	v_bfi_b32 v4, 0xffff, v10, v4
	s_delay_alu instid0(VALU_DEP_3)
	v_sub_f16_e32 v8, v8, v11
	ds_store_b16 v1, v6 offset:578
	ds_store_b32 v23, v4
	ds_store_b16 v1, v8 offset:576
	ds_load_b32 v4, v22
	ds_load_b32 v6, v1 offset:512
	s_wait_dscnt 0x0
	v_pk_add_f16 v8, v4, v6 neg_lo:[0,1] neg_hi:[0,1]
	v_pk_add_f16 v4, v4, v6
	s_delay_alu instid0(VALU_DEP_1) | instskip(SKIP_1) | instid1(VALU_DEP_2)
	v_bfi_b32 v6, 0xffff, v8, v4
	v_bfi_b32 v4, 0xffff, v4, v8
	v_pk_mul_f16 v6, v6, 0.5 op_sel_hi:[1,0]
	s_delay_alu instid0(VALU_DEP_2) | instskip(SKIP_1) | instid1(VALU_DEP_2)
	v_pk_mul_f16 v4, v4, 0.5 op_sel_hi:[1,0]
	s_wait_loadcnt 0x1
	v_pk_mul_f16 v9, v7, v6 op_sel_hi:[0,1]
	s_delay_alu instid0(VALU_DEP_2) | instskip(SKIP_2) | instid1(VALU_DEP_3)
	v_pk_fma_f16 v8, v7, v6, v4 op_sel:[1,0,0]
	v_pk_fma_f16 v10, v7, v6, v4 op_sel:[1,0,0] neg_lo:[1,0,0] neg_hi:[1,0,0]
	v_pk_fma_f16 v4, v7, v6, v4 op_sel:[1,0,0] neg_lo:[0,0,1] neg_hi:[0,0,1]
	v_pk_add_f16 v6, v8, v9 op_sel:[0,1] op_sel_hi:[1,0]
	v_pk_add_f16 v7, v8, v9 op_sel:[0,1] op_sel_hi:[1,0] neg_lo:[0,1] neg_hi:[0,1]
	s_delay_alu instid0(VALU_DEP_4) | instskip(NEXT) | instid1(VALU_DEP_4)
	v_pk_add_f16 v8, v10, v9 op_sel:[0,1] op_sel_hi:[1,0] neg_lo:[0,1] neg_hi:[0,1]
	v_pk_add_f16 v4, v4, v9 op_sel:[0,1] op_sel_hi:[1,0] neg_lo:[0,1] neg_hi:[0,1]
	s_delay_alu instid0(VALU_DEP_3) | instskip(NEXT) | instid1(VALU_DEP_2)
	v_bfi_b32 v6, 0xffff, v6, v7
	v_bfi_b32 v4, 0xffff, v8, v4
	ds_store_b32 v22, v6
	ds_store_b32 v1, v4 offset:512
	ds_load_b32 v4, v21
	ds_load_b32 v6, v1 offset:448
	s_wait_dscnt 0x0
	v_pk_add_f16 v7, v4, v6 neg_lo:[0,1] neg_hi:[0,1]
	v_pk_add_f16 v4, v4, v6
	s_delay_alu instid0(VALU_DEP_1) | instskip(SKIP_1) | instid1(VALU_DEP_2)
	v_bfi_b32 v6, 0xffff, v7, v4
	v_bfi_b32 v4, 0xffff, v4, v7
	v_pk_mul_f16 v6, v6, 0.5 op_sel_hi:[1,0]
	s_delay_alu instid0(VALU_DEP_2) | instskip(SKIP_1) | instid1(VALU_DEP_2)
	v_pk_mul_f16 v4, v4, 0.5 op_sel_hi:[1,0]
	s_wait_loadcnt 0x0
	v_pk_mul_f16 v8, v5, v6 op_sel_hi:[0,1]
	s_delay_alu instid0(VALU_DEP_2) | instskip(SKIP_2) | instid1(VALU_DEP_3)
	v_pk_fma_f16 v7, v5, v6, v4 op_sel:[1,0,0]
	v_pk_fma_f16 v9, v5, v6, v4 op_sel:[1,0,0] neg_lo:[1,0,0] neg_hi:[1,0,0]
	v_pk_fma_f16 v4, v5, v6, v4 op_sel:[1,0,0] neg_lo:[0,0,1] neg_hi:[0,0,1]
	v_pk_add_f16 v5, v7, v8 op_sel:[0,1] op_sel_hi:[1,0]
	v_pk_add_f16 v6, v7, v8 op_sel:[0,1] op_sel_hi:[1,0] neg_lo:[0,1] neg_hi:[0,1]
	s_delay_alu instid0(VALU_DEP_4) | instskip(NEXT) | instid1(VALU_DEP_4)
	v_pk_add_f16 v7, v9, v8 op_sel:[0,1] op_sel_hi:[1,0] neg_lo:[0,1] neg_hi:[0,1]
	v_pk_add_f16 v4, v4, v8 op_sel:[0,1] op_sel_hi:[1,0] neg_lo:[0,1] neg_hi:[0,1]
	s_delay_alu instid0(VALU_DEP_3) | instskip(NEXT) | instid1(VALU_DEP_2)
	v_bfi_b32 v5, 0xffff, v5, v6
	v_bfi_b32 v4, 0xffff, v7, v4
	ds_store_b32 v21, v5
	ds_store_b32 v1, v4 offset:448
	global_wb scope:SCOPE_SE
	s_wait_dscnt 0x0
	s_barrier_signal -1
	s_barrier_wait -1
	global_inv scope:SCOPE_SE
	s_and_saveexec_b32 s0, vcc_lo
	s_cbranch_execz .LBB0_20
; %bb.18:
	ds_load_2addr_b32 v[4:5], v18 offset1:16
	ds_load_2addr_b32 v[6:7], v18 offset0:32 offset1:48
	ds_load_2addr_b32 v[8:9], v18 offset0:64 offset1:80
	ds_load_2addr_b32 v[10:11], v18 offset0:96 offset1:112
	ds_load_2addr_b32 v[12:13], v18 offset0:128 offset1:144
	ds_load_2addr_b32 v[14:15], v18 offset0:160 offset1:176
	v_add_co_u32 v1, vcc_lo, s8, v2
	s_wait_alu 0xfffd
	v_add_co_ci_u32_e32 v2, vcc_lo, s9, v3, vcc_lo
	s_delay_alu instid0(VALU_DEP_2) | instskip(SKIP_1) | instid1(VALU_DEP_2)
	v_add_co_u32 v16, vcc_lo, v1, v17
	s_wait_alu 0xfffd
	v_add_co_ci_u32_e32 v17, vcc_lo, 0, v2, vcc_lo
	v_cmp_eq_u32_e32 vcc_lo, 15, v0
	s_wait_dscnt 0x5
	s_clause 0x1
	global_store_b32 v[16:17], v4, off
	global_store_b32 v[16:17], v5, off offset:64
	s_wait_dscnt 0x4
	s_clause 0x1
	global_store_b32 v[16:17], v6, off offset:128
	global_store_b32 v[16:17], v7, off offset:192
	s_wait_dscnt 0x3
	s_clause 0x1
	global_store_b32 v[16:17], v8, off offset:256
	;; [unrolled: 4-line block ×5, first 2 shown]
	global_store_b32 v[16:17], v15, off offset:704
	s_and_b32 exec_lo, exec_lo, vcc_lo
	s_cbranch_execz .LBB0_20
; %bb.19:
	ds_load_b32 v0, v18 offset:708
	s_wait_dscnt 0x0
	global_store_b32 v[1:2], v0, off offset:768
.LBB0_20:
	s_nop 0
	s_sendmsg sendmsg(MSG_DEALLOC_VGPRS)
	s_endpgm
	.section	.rodata,"a",@progbits
	.p2align	6, 0x0
	.amdhsa_kernel fft_rtc_back_len192_factors_6_4_4_2_wgs_128_tpt_16_halfLds_half_ip_CI_unitstride_sbrr_R2C_dirReg
		.amdhsa_group_segment_fixed_size 0
		.amdhsa_private_segment_fixed_size 0
		.amdhsa_kernarg_size 88
		.amdhsa_user_sgpr_count 2
		.amdhsa_user_sgpr_dispatch_ptr 0
		.amdhsa_user_sgpr_queue_ptr 0
		.amdhsa_user_sgpr_kernarg_segment_ptr 1
		.amdhsa_user_sgpr_dispatch_id 0
		.amdhsa_user_sgpr_private_segment_size 0
		.amdhsa_wavefront_size32 1
		.amdhsa_uses_dynamic_stack 0
		.amdhsa_enable_private_segment 0
		.amdhsa_system_sgpr_workgroup_id_x 1
		.amdhsa_system_sgpr_workgroup_id_y 0
		.amdhsa_system_sgpr_workgroup_id_z 0
		.amdhsa_system_sgpr_workgroup_info 0
		.amdhsa_system_vgpr_workitem_id 0
		.amdhsa_next_free_vgpr 81
		.amdhsa_next_free_sgpr 32
		.amdhsa_reserve_vcc 1
		.amdhsa_float_round_mode_32 0
		.amdhsa_float_round_mode_16_64 0
		.amdhsa_float_denorm_mode_32 3
		.amdhsa_float_denorm_mode_16_64 3
		.amdhsa_fp16_overflow 0
		.amdhsa_workgroup_processor_mode 1
		.amdhsa_memory_ordered 1
		.amdhsa_forward_progress 0
		.amdhsa_round_robin_scheduling 0
		.amdhsa_exception_fp_ieee_invalid_op 0
		.amdhsa_exception_fp_denorm_src 0
		.amdhsa_exception_fp_ieee_div_zero 0
		.amdhsa_exception_fp_ieee_overflow 0
		.amdhsa_exception_fp_ieee_underflow 0
		.amdhsa_exception_fp_ieee_inexact 0
		.amdhsa_exception_int_div_zero 0
	.end_amdhsa_kernel
	.text
.Lfunc_end0:
	.size	fft_rtc_back_len192_factors_6_4_4_2_wgs_128_tpt_16_halfLds_half_ip_CI_unitstride_sbrr_R2C_dirReg, .Lfunc_end0-fft_rtc_back_len192_factors_6_4_4_2_wgs_128_tpt_16_halfLds_half_ip_CI_unitstride_sbrr_R2C_dirReg
                                        ; -- End function
	.section	.AMDGPU.csdata,"",@progbits
; Kernel info:
; codeLenInByte = 7252
; NumSgprs: 34
; NumVgprs: 81
; ScratchSize: 0
; MemoryBound: 0
; FloatMode: 240
; IeeeMode: 1
; LDSByteSize: 0 bytes/workgroup (compile time only)
; SGPRBlocks: 4
; VGPRBlocks: 10
; NumSGPRsForWavesPerEU: 34
; NumVGPRsForWavesPerEU: 81
; Occupancy: 16
; WaveLimiterHint : 1
; COMPUTE_PGM_RSRC2:SCRATCH_EN: 0
; COMPUTE_PGM_RSRC2:USER_SGPR: 2
; COMPUTE_PGM_RSRC2:TRAP_HANDLER: 0
; COMPUTE_PGM_RSRC2:TGID_X_EN: 1
; COMPUTE_PGM_RSRC2:TGID_Y_EN: 0
; COMPUTE_PGM_RSRC2:TGID_Z_EN: 0
; COMPUTE_PGM_RSRC2:TIDIG_COMP_CNT: 0
	.text
	.p2alignl 7, 3214868480
	.fill 96, 4, 3214868480
	.type	__hip_cuid_c05bcf4baccf7a84,@object ; @__hip_cuid_c05bcf4baccf7a84
	.section	.bss,"aw",@nobits
	.globl	__hip_cuid_c05bcf4baccf7a84
__hip_cuid_c05bcf4baccf7a84:
	.byte	0                               ; 0x0
	.size	__hip_cuid_c05bcf4baccf7a84, 1

	.ident	"AMD clang version 19.0.0git (https://github.com/RadeonOpenCompute/llvm-project roc-6.4.0 25133 c7fe45cf4b819c5991fe208aaa96edf142730f1d)"
	.section	".note.GNU-stack","",@progbits
	.addrsig
	.addrsig_sym __hip_cuid_c05bcf4baccf7a84
	.amdgpu_metadata
---
amdhsa.kernels:
  - .args:
      - .actual_access:  read_only
        .address_space:  global
        .offset:         0
        .size:           8
        .value_kind:     global_buffer
      - .offset:         8
        .size:           8
        .value_kind:     by_value
      - .actual_access:  read_only
        .address_space:  global
        .offset:         16
        .size:           8
        .value_kind:     global_buffer
      - .actual_access:  read_only
        .address_space:  global
        .offset:         24
        .size:           8
        .value_kind:     global_buffer
      - .offset:         32
        .size:           8
        .value_kind:     by_value
      - .actual_access:  read_only
        .address_space:  global
        .offset:         40
        .size:           8
        .value_kind:     global_buffer
      - .actual_access:  read_only
        .address_space:  global
        .offset:         48
        .size:           8
        .value_kind:     global_buffer
      - .offset:         56
        .size:           4
        .value_kind:     by_value
      - .actual_access:  read_only
        .address_space:  global
        .offset:         64
        .size:           8
        .value_kind:     global_buffer
      - .actual_access:  read_only
        .address_space:  global
        .offset:         72
        .size:           8
        .value_kind:     global_buffer
      - .address_space:  global
        .offset:         80
        .size:           8
        .value_kind:     global_buffer
    .group_segment_fixed_size: 0
    .kernarg_segment_align: 8
    .kernarg_segment_size: 88
    .language:       OpenCL C
    .language_version:
      - 2
      - 0
    .max_flat_workgroup_size: 128
    .name:           fft_rtc_back_len192_factors_6_4_4_2_wgs_128_tpt_16_halfLds_half_ip_CI_unitstride_sbrr_R2C_dirReg
    .private_segment_fixed_size: 0
    .sgpr_count:     34
    .sgpr_spill_count: 0
    .symbol:         fft_rtc_back_len192_factors_6_4_4_2_wgs_128_tpt_16_halfLds_half_ip_CI_unitstride_sbrr_R2C_dirReg.kd
    .uniform_work_group_size: 1
    .uses_dynamic_stack: false
    .vgpr_count:     81
    .vgpr_spill_count: 0
    .wavefront_size: 32
    .workgroup_processor_mode: 1
amdhsa.target:   amdgcn-amd-amdhsa--gfx1201
amdhsa.version:
  - 1
  - 2
...

	.end_amdgpu_metadata
